;; amdgpu-corpus repo=ROCm/rocFFT kind=compiled arch=gfx1030 opt=O3
	.text
	.amdgcn_target "amdgcn-amd-amdhsa--gfx1030"
	.amdhsa_code_object_version 6
	.protected	fft_rtc_back_len1573_factors_13_11_11_wgs_143_tpt_143_half_ip_CI_unitstride_sbrr_dirReg ; -- Begin function fft_rtc_back_len1573_factors_13_11_11_wgs_143_tpt_143_half_ip_CI_unitstride_sbrr_dirReg
	.globl	fft_rtc_back_len1573_factors_13_11_11_wgs_143_tpt_143_half_ip_CI_unitstride_sbrr_dirReg
	.p2align	8
	.type	fft_rtc_back_len1573_factors_13_11_11_wgs_143_tpt_143_half_ip_CI_unitstride_sbrr_dirReg,@function
fft_rtc_back_len1573_factors_13_11_11_wgs_143_tpt_143_half_ip_CI_unitstride_sbrr_dirReg: ; @fft_rtc_back_len1573_factors_13_11_11_wgs_143_tpt_143_half_ip_CI_unitstride_sbrr_dirReg
; %bb.0:
	s_clause 0x2
	s_load_dwordx4 s[8:11], s[4:5], 0x0
	s_load_dwordx2 s[2:3], s[4:5], 0x50
	s_load_dwordx2 s[12:13], s[4:5], 0x18
	v_mul_u32_u24_e32 v1, 0x1cb, v0
	v_mov_b32_e32 v3, 0
	v_add_nc_u32_sdwa v5, s6, v1 dst_sel:DWORD dst_unused:UNUSED_PAD src0_sel:DWORD src1_sel:WORD_1
	v_mov_b32_e32 v1, 0
	v_mov_b32_e32 v6, v3
	v_mov_b32_e32 v2, 0
	s_waitcnt lgkmcnt(0)
	v_cmp_lt_u64_e64 s0, s[10:11], 2
	s_and_b32 vcc_lo, exec_lo, s0
	s_cbranch_vccnz .LBB0_8
; %bb.1:
	s_load_dwordx2 s[0:1], s[4:5], 0x10
	v_mov_b32_e32 v1, 0
	s_add_u32 s6, s12, 8
	v_mov_b32_e32 v2, 0
	s_addc_u32 s7, s13, 0
	s_mov_b64 s[16:17], 1
	s_waitcnt lgkmcnt(0)
	s_add_u32 s14, s0, 8
	s_addc_u32 s15, s1, 0
.LBB0_2:                                ; =>This Inner Loop Header: Depth=1
	s_load_dwordx2 s[18:19], s[14:15], 0x0
                                        ; implicit-def: $vgpr7_vgpr8
	s_mov_b32 s0, exec_lo
	s_waitcnt lgkmcnt(0)
	v_or_b32_e32 v4, s19, v6
	v_cmpx_ne_u64_e32 0, v[3:4]
	s_xor_b32 s1, exec_lo, s0
	s_cbranch_execz .LBB0_4
; %bb.3:                                ;   in Loop: Header=BB0_2 Depth=1
	v_cvt_f32_u32_e32 v4, s18
	v_cvt_f32_u32_e32 v7, s19
	s_sub_u32 s0, 0, s18
	s_subb_u32 s20, 0, s19
	v_fmac_f32_e32 v4, 0x4f800000, v7
	v_rcp_f32_e32 v4, v4
	v_mul_f32_e32 v4, 0x5f7ffffc, v4
	v_mul_f32_e32 v7, 0x2f800000, v4
	v_trunc_f32_e32 v7, v7
	v_fmac_f32_e32 v4, 0xcf800000, v7
	v_cvt_u32_f32_e32 v7, v7
	v_cvt_u32_f32_e32 v4, v4
	v_mul_lo_u32 v8, s0, v7
	v_mul_hi_u32 v9, s0, v4
	v_mul_lo_u32 v10, s20, v4
	v_add_nc_u32_e32 v8, v9, v8
	v_mul_lo_u32 v9, s0, v4
	v_add_nc_u32_e32 v8, v8, v10
	v_mul_hi_u32 v10, v4, v9
	v_mul_lo_u32 v11, v4, v8
	v_mul_hi_u32 v12, v4, v8
	v_mul_hi_u32 v13, v7, v9
	v_mul_lo_u32 v9, v7, v9
	v_mul_hi_u32 v14, v7, v8
	v_mul_lo_u32 v8, v7, v8
	v_add_co_u32 v10, vcc_lo, v10, v11
	v_add_co_ci_u32_e32 v11, vcc_lo, 0, v12, vcc_lo
	v_add_co_u32 v9, vcc_lo, v10, v9
	v_add_co_ci_u32_e32 v9, vcc_lo, v11, v13, vcc_lo
	v_add_co_ci_u32_e32 v10, vcc_lo, 0, v14, vcc_lo
	v_add_co_u32 v8, vcc_lo, v9, v8
	v_add_co_ci_u32_e32 v9, vcc_lo, 0, v10, vcc_lo
	v_add_co_u32 v4, vcc_lo, v4, v8
	v_add_co_ci_u32_e32 v7, vcc_lo, v7, v9, vcc_lo
	v_mul_hi_u32 v8, s0, v4
	v_mul_lo_u32 v10, s20, v4
	v_mul_lo_u32 v9, s0, v7
	v_add_nc_u32_e32 v8, v8, v9
	v_mul_lo_u32 v9, s0, v4
	v_add_nc_u32_e32 v8, v8, v10
	v_mul_hi_u32 v10, v4, v9
	v_mul_lo_u32 v11, v4, v8
	v_mul_hi_u32 v12, v4, v8
	v_mul_hi_u32 v13, v7, v9
	v_mul_lo_u32 v9, v7, v9
	v_mul_hi_u32 v14, v7, v8
	v_mul_lo_u32 v8, v7, v8
	v_add_co_u32 v10, vcc_lo, v10, v11
	v_add_co_ci_u32_e32 v11, vcc_lo, 0, v12, vcc_lo
	v_add_co_u32 v9, vcc_lo, v10, v9
	v_add_co_ci_u32_e32 v9, vcc_lo, v11, v13, vcc_lo
	v_add_co_ci_u32_e32 v10, vcc_lo, 0, v14, vcc_lo
	v_add_co_u32 v8, vcc_lo, v9, v8
	v_add_co_ci_u32_e32 v9, vcc_lo, 0, v10, vcc_lo
	v_add_co_u32 v4, vcc_lo, v4, v8
	v_add_co_ci_u32_e32 v11, vcc_lo, v7, v9, vcc_lo
	v_mul_hi_u32 v13, v5, v4
	v_mad_u64_u32 v[9:10], null, v6, v4, 0
	v_mad_u64_u32 v[7:8], null, v5, v11, 0
	;; [unrolled: 1-line block ×3, first 2 shown]
	v_add_co_u32 v4, vcc_lo, v13, v7
	v_add_co_ci_u32_e32 v7, vcc_lo, 0, v8, vcc_lo
	v_add_co_u32 v4, vcc_lo, v4, v9
	v_add_co_ci_u32_e32 v4, vcc_lo, v7, v10, vcc_lo
	v_add_co_ci_u32_e32 v7, vcc_lo, 0, v12, vcc_lo
	v_add_co_u32 v4, vcc_lo, v4, v11
	v_add_co_ci_u32_e32 v9, vcc_lo, 0, v7, vcc_lo
	v_mul_lo_u32 v10, s19, v4
	v_mad_u64_u32 v[7:8], null, s18, v4, 0
	v_mul_lo_u32 v11, s18, v9
	v_sub_co_u32 v7, vcc_lo, v5, v7
	v_add3_u32 v8, v8, v11, v10
	v_sub_nc_u32_e32 v10, v6, v8
	v_subrev_co_ci_u32_e64 v10, s0, s19, v10, vcc_lo
	v_add_co_u32 v11, s0, v4, 2
	v_add_co_ci_u32_e64 v12, s0, 0, v9, s0
	v_sub_co_u32 v13, s0, v7, s18
	v_sub_co_ci_u32_e32 v8, vcc_lo, v6, v8, vcc_lo
	v_subrev_co_ci_u32_e64 v10, s0, 0, v10, s0
	v_cmp_le_u32_e32 vcc_lo, s18, v13
	v_cmp_eq_u32_e64 s0, s19, v8
	v_cndmask_b32_e64 v13, 0, -1, vcc_lo
	v_cmp_le_u32_e32 vcc_lo, s19, v10
	v_cndmask_b32_e64 v14, 0, -1, vcc_lo
	v_cmp_le_u32_e32 vcc_lo, s18, v7
	;; [unrolled: 2-line block ×3, first 2 shown]
	v_cndmask_b32_e64 v15, 0, -1, vcc_lo
	v_cmp_eq_u32_e32 vcc_lo, s19, v10
	v_cndmask_b32_e64 v7, v15, v7, s0
	v_cndmask_b32_e32 v10, v14, v13, vcc_lo
	v_add_co_u32 v13, vcc_lo, v4, 1
	v_add_co_ci_u32_e32 v14, vcc_lo, 0, v9, vcc_lo
	v_cmp_ne_u32_e32 vcc_lo, 0, v10
	v_cndmask_b32_e32 v8, v14, v12, vcc_lo
	v_cndmask_b32_e32 v10, v13, v11, vcc_lo
	v_cmp_ne_u32_e32 vcc_lo, 0, v7
	v_cndmask_b32_e32 v8, v9, v8, vcc_lo
	v_cndmask_b32_e32 v7, v4, v10, vcc_lo
.LBB0_4:                                ;   in Loop: Header=BB0_2 Depth=1
	s_andn2_saveexec_b32 s0, s1
	s_cbranch_execz .LBB0_6
; %bb.5:                                ;   in Loop: Header=BB0_2 Depth=1
	v_cvt_f32_u32_e32 v4, s18
	s_sub_i32 s1, 0, s18
	v_rcp_iflag_f32_e32 v4, v4
	v_mul_f32_e32 v4, 0x4f7ffffe, v4
	v_cvt_u32_f32_e32 v4, v4
	v_mul_lo_u32 v7, s1, v4
	v_mul_hi_u32 v7, v4, v7
	v_add_nc_u32_e32 v4, v4, v7
	v_mul_hi_u32 v4, v5, v4
	v_mul_lo_u32 v7, v4, s18
	v_add_nc_u32_e32 v8, 1, v4
	v_sub_nc_u32_e32 v7, v5, v7
	v_subrev_nc_u32_e32 v9, s18, v7
	v_cmp_le_u32_e32 vcc_lo, s18, v7
	v_cndmask_b32_e32 v7, v7, v9, vcc_lo
	v_cndmask_b32_e32 v4, v4, v8, vcc_lo
	v_cmp_le_u32_e32 vcc_lo, s18, v7
	v_add_nc_u32_e32 v8, 1, v4
	v_cndmask_b32_e32 v7, v4, v8, vcc_lo
	v_mov_b32_e32 v8, v3
.LBB0_6:                                ;   in Loop: Header=BB0_2 Depth=1
	s_or_b32 exec_lo, exec_lo, s0
	s_load_dwordx2 s[0:1], s[6:7], 0x0
	v_mul_lo_u32 v4, v8, s18
	v_mul_lo_u32 v11, v7, s19
	v_mad_u64_u32 v[9:10], null, v7, s18, 0
	s_add_u32 s16, s16, 1
	s_addc_u32 s17, s17, 0
	s_add_u32 s6, s6, 8
	s_addc_u32 s7, s7, 0
	;; [unrolled: 2-line block ×3, first 2 shown]
	v_add3_u32 v4, v10, v11, v4
	v_sub_co_u32 v5, vcc_lo, v5, v9
	v_sub_co_ci_u32_e32 v4, vcc_lo, v6, v4, vcc_lo
	s_waitcnt lgkmcnt(0)
	v_mul_lo_u32 v6, s1, v5
	v_mul_lo_u32 v4, s0, v4
	v_mad_u64_u32 v[1:2], null, s0, v5, v[1:2]
	v_cmp_ge_u64_e64 s0, s[16:17], s[10:11]
	s_and_b32 vcc_lo, exec_lo, s0
	v_add3_u32 v2, v6, v2, v4
	s_cbranch_vccnz .LBB0_9
; %bb.7:                                ;   in Loop: Header=BB0_2 Depth=1
	v_mov_b32_e32 v5, v7
	v_mov_b32_e32 v6, v8
	s_branch .LBB0_2
.LBB0_8:
	v_mov_b32_e32 v8, v6
	v_mov_b32_e32 v7, v5
.LBB0_9:
	s_lshl_b64 s[0:1], s[10:11], 3
	v_mul_hi_u32 v3, 0x1ca4b31, v0
	s_add_u32 s0, s12, s0
	s_addc_u32 s1, s13, s1
                                        ; implicit-def: $vgpr11
                                        ; implicit-def: $vgpr10
                                        ; implicit-def: $vgpr12
                                        ; implicit-def: $vgpr9
                                        ; implicit-def: $vgpr13
                                        ; implicit-def: $vgpr14
                                        ; implicit-def: $vgpr15
                                        ; implicit-def: $vgpr16
	s_load_dwordx2 s[0:1], s[0:1], 0x0
	s_load_dwordx2 s[4:5], s[4:5], 0x20
	v_mul_u32_u24_e32 v3, 0x8f, v3
	v_sub_nc_u32_e32 v4, v0, v3
	v_mov_b32_e32 v3, 0
                                        ; implicit-def: $vgpr0
	s_waitcnt lgkmcnt(0)
	v_mul_lo_u32 v5, s0, v8
	v_mul_lo_u32 v6, s1, v7
	v_mad_u64_u32 v[1:2], null, s0, v7, v[1:2]
	v_cmp_gt_u64_e32 vcc_lo, s[4:5], v[7:8]
                                        ; implicit-def: $vgpr7
                                        ; implicit-def: $vgpr8
	v_add3_u32 v2, v6, v2, v5
                                        ; implicit-def: $vgpr6
                                        ; implicit-def: $vgpr5
	s_and_saveexec_b32 s1, vcc_lo
	s_cbranch_execz .LBB0_13
; %bb.10:
	s_mov_b32 s4, exec_lo
                                        ; implicit-def: $vgpr0
                                        ; implicit-def: $vgpr16
                                        ; implicit-def: $vgpr5
                                        ; implicit-def: $vgpr15
                                        ; implicit-def: $vgpr6
                                        ; implicit-def: $vgpr14
                                        ; implicit-def: $vgpr8
                                        ; implicit-def: $vgpr13
                                        ; implicit-def: $vgpr9
                                        ; implicit-def: $vgpr12
                                        ; implicit-def: $vgpr10
                                        ; implicit-def: $vgpr11
                                        ; implicit-def: $vgpr7
	v_cmpx_gt_u32_e32 0x79, v4
	s_cbranch_execz .LBB0_12
; %bb.11:
	v_mov_b32_e32 v5, 0
	v_lshlrev_b64 v[6:7], 2, v[1:2]
	v_lshlrev_b64 v[8:9], 2, v[4:5]
	v_add_co_u32 v0, s0, s2, v6
	v_add_co_ci_u32_e64 v3, s0, s3, v7, s0
	v_add_co_u32 v5, s0, v0, v8
	v_add_co_ci_u32_e64 v6, s0, v3, v9, s0
	v_add_co_u32 v8, s0, 0x800, v5
	v_add_co_ci_u32_e64 v9, s0, 0, v6, s0
	v_add_co_u32 v17, s0, 0x1000, v5
	v_add_co_ci_u32_e64 v18, s0, 0, v6, s0
	s_clause 0xc
	global_load_dword v7, v[5:6], off
	global_load_dword v16, v[5:6], off offset:484
	global_load_dword v15, v[5:6], off offset:968
	;; [unrolled: 1-line block ×12, first 2 shown]
.LBB0_12:
	s_or_b32 exec_lo, exec_lo, s4
	v_mov_b32_e32 v3, v4
.LBB0_13:
	s_or_b32 exec_lo, exec_lo, s1
	s_mov_b32 s1, exec_lo
	v_cmpx_gt_u32_e32 0x79, v4
	s_cbranch_execz .LBB0_15
; %bb.14:
	s_waitcnt vmcnt(0)
	v_pk_add_f16 v41, v16, v0 neg_lo:[0,1] neg_hi:[0,1]
	v_pk_add_f16 v37, v16, v0
	v_pk_add_f16 v42, v15, v5 neg_lo:[0,1] neg_hi:[0,1]
	v_pk_add_f16 v35, v15, v5
	v_pk_add_f16 v43, v14, v6 neg_lo:[0,1] neg_hi:[0,1]
	v_pk_mul_f16 v81, 0xb3a8, v41 op_sel_hi:[0,1]
	v_lshrrev_b32_e32 v38, 16, v37
	v_mul_f16_e32 v31, 0xb94e, v41
	v_pk_mul_f16 v85, 0x3770, v42 op_sel_hi:[0,1]
	v_pk_add_f16 v36, v14, v6
	v_pk_fma_f16 v84, 0xbbc4, v37, v81 op_sel:[0,0,1] op_sel_hi:[0,1,0]
	v_pk_add_f16 v44, v13, v8 neg_lo:[0,1] neg_hi:[0,1]
	v_fma_f16 v45, v38, 0xb9fd, -v31
	v_lshrrev_b32_e32 v39, 16, v35
	v_mul_f16_e32 v29, 0x3bf1, v42
	v_mul_f16_e32 v34, 0xbb7b, v41
	;; [unrolled: 1-line block ×5, first 2 shown]
	v_pk_add_f16 v84, v84, v7
	v_pk_fma_f16 v88, 0x3b15, v35, v85 op_sel:[0,0,1] op_sel_hi:[0,1,0]
	v_pk_mul_f16 v89, 0xb94e, v43 op_sel_hi:[0,1]
	v_pk_add_f16 v28, v13, v8
	v_lshrrev_b32_e32 v40, 16, v36
	v_mul_f16_e32 v25, 0xba95, v43
	v_mul_f16_e32 v32, 0x394e, v42
	v_fma_f16 v47, v39, 0x2fb7, -v29
	v_fma_f16 v50, v38, 0xb5ac, -v34
	v_mul_f16_e32 v26, 0x3770, v43
	v_mul_f16_e32 v20, 0xb3a8, v42
	;; [unrolled: 1-line block ×3, first 2 shown]
	v_fma_f16 v54, v38, 0x2fb7, -v33
	v_mul_f16_e32 v22, 0xbb7b, v42
	v_mul_f16_e32 v21, 0xb3a8, v43
	;; [unrolled: 1-line block ×3, first 2 shown]
	v_fma_f16 v57, v38, 0x388b, -v24
	v_fma_f16 v60, v38, 0x3b15, -v30
	v_fmac_f16_e32 v31, 0xb9fd, v38
	v_fmac_f16_e32 v34, 0xb5ac, v38
	;; [unrolled: 1-line block ×5, first 2 shown]
	v_mul_f16_e32 v38, 0xbbf1, v43
	v_pk_add_f16 v64, v12, v9
	v_pk_add_f16 v65, v12, v9 neg_lo:[0,1] neg_hi:[0,1]
	v_pk_add_f16 v84, v88, v84
	v_add_f16_sdwa v45, v45, v7 dst_sel:DWORD dst_unused:UNUSED_PAD src0_sel:DWORD src1_sel:WORD_1
	v_pk_fma_f16 v88, 0xb9fd, v36, v89 op_sel:[0,0,1] op_sel_hi:[0,1,0]
	v_pk_mul_f16 v92, 0x3a95, v44 op_sel_hi:[0,1]
	v_lshrrev_b32_e32 v46, 16, v28
	v_mul_f16_e32 v23, 0x33a8, v44
	v_fma_f16 v48, v40, 0x388b, -v25
	v_fma_f16 v51, v39, 0xb9fd, -v32
	v_mul_f16_e32 v17, 0xbbf1, v44
	v_fma_f16 v52, v40, 0x3b15, -v26
	v_fma_f16 v55, v39, 0xbbc4, -v20
	;; [unrolled: 1-line block ×3, first 2 shown]
	v_mul_f16_e32 v19, 0x3770, v44
	v_fma_f16 v58, v39, 0xb5ac, -v22
	v_fma_f16 v59, v40, 0xbbc4, -v21
	;; [unrolled: 1-line block ×3, first 2 shown]
	v_fmac_f16_e32 v29, 0x2fb7, v39
	v_fmac_f16_e32 v32, 0xb9fd, v39
	;; [unrolled: 1-line block ×5, first 2 shown]
	v_fma_f16 v62, v40, 0x2fb7, -v38
	v_fmac_f16_e32 v25, 0x388b, v40
	v_fmac_f16_e32 v26, 0x3b15, v40
	;; [unrolled: 1-line block ×5, first 2 shown]
	v_mul_f16_e32 v39, 0x394e, v44
	v_mul_f16_e32 v40, 0xbb7b, v44
	v_lshrrev_b32_e32 v67, 16, v64
	v_mul_f16_e32 v68, 0x3770, v65
	v_mul_f16_e32 v70, 0x33a8, v65
	v_mul_f16_e32 v71, 0xba95, v65
	v_mul_f16_e32 v73, 0x3bf1, v65
	v_pk_add_f16 v75, v11, v10
	v_pk_add_f16 v76, v11, v10 neg_lo:[0,1] neg_hi:[0,1]
	v_mul_f16_e32 v78, 0xb94e, v65
	v_add_f16_e32 v45, v47, v45
	v_pk_add_f16 v47, v88, v84
	v_pk_fma_f16 v84, 0x388b, v28, v92 op_sel:[0,0,1] op_sel_hi:[0,1,0]
	v_pk_mul_f16 v88, 0xbb7b, v65 op_sel_hi:[0,1]
	v_mov_b32_e32 v96, 0xb94e
	v_fma_f16 v49, v46, 0xbbc4, -v23
	v_fma_f16 v53, v46, 0x2fb7, -v17
	;; [unrolled: 1-line block ×3, first 2 shown]
	v_fmac_f16_e32 v23, 0xbbc4, v46
	v_fmac_f16_e32 v17, 0x2fb7, v46
	;; [unrolled: 1-line block ×3, first 2 shown]
	v_fma_f16 v66, v46, 0xb9fd, -v39
	v_fmac_f16_e32 v39, 0xb9fd, v46
	v_fma_f16 v69, v46, 0xb5ac, -v40
	v_fmac_f16_e32 v40, 0xb5ac, v46
	;; [unrolled: 2-line block ×6, first 2 shown]
	v_lshrrev_b32_e32 v79, 16, v75
	v_mul_f16_e32 v80, 0xbb7b, v76
	v_fma_f16 v82, v67, 0xb9fd, -v78
	v_fmac_f16_e32 v78, 0xb9fd, v67
	v_mul_f16_e32 v67, 0x3a95, v76
	v_mul_f16_e32 v87, 0xb94e, v76
	;; [unrolled: 1-line block ×4, first 2 shown]
	v_add_f16_e32 v45, v48, v45
	v_pk_add_f16 v47, v84, v47
	v_pk_fma_f16 v48, 0xb5ac, v64, v88 op_sel:[0,0,1] op_sel_hi:[0,1,0]
	v_mov_b32_e32 v97, 0xbb7b
	v_mul_f16_sdwa v100, v41, v96 dst_sel:DWORD dst_unused:UNUSED_PAD src0_sel:WORD_1 src1_sel:DWORD
	v_mov_b32_e32 v108, 0x3bf1
	v_fma_f16 v83, v79, 0xb5ac, -v80
	v_fmac_f16_e32 v80, 0xb5ac, v79
	v_fma_f16 v86, v79, 0x388b, -v67
	v_fmac_f16_e32 v67, 0x388b, v79
	v_fma_f16 v90, v79, 0xb9fd, -v87
	v_fmac_f16_e32 v87, 0xb9fd, v79
	v_fma_f16 v93, v79, 0x3b15, -v91
	v_fmac_f16_e32 v91, 0x3b15, v79
	v_fma_f16 v84, v79, 0xbbc4, -v94
	v_fmac_f16_e32 v94, 0xbbc4, v79
	v_add_f16_e32 v45, v49, v45
	v_mov_b32_e32 v49, 0x33a8
	v_pk_add_f16 v47, v48, v47
	v_mov_b32_e32 v48, 0x3a95
	v_mov_b32_e32 v79, 0x3b7b
	;; [unrolled: 1-line block ×6, first 2 shown]
	v_mul_f16_sdwa v102, v41, v97 dst_sel:DWORD dst_unused:UNUSED_PAD src0_sel:WORD_1 src1_sel:DWORD
	v_mov_b32_e32 v104, 0x3770
	v_mov_b32_e32 v109, 0xb3a8
	v_mul_f16_sdwa v111, v42, v108 dst_sel:DWORD dst_unused:UNUSED_PAD src0_sel:WORD_1 src1_sel:DWORD
	v_pk_mul_f16 v115, 0x3bf1, v76 op_sel_hi:[0,1]
	v_fmamk_f16 v116, v37, 0xb9fd, v100
	v_add_f16_e32 v45, v46, v45
	v_mul_f16_sdwa v46, v44, v49 dst_sel:DWORD dst_unused:UNUSED_PAD src0_sel:WORD_1 src1_sel:DWORD
	v_mul_f16_sdwa v49, v65, v49 dst_sel:DWORD dst_unused:UNUSED_PAD src0_sel:WORD_1 src1_sel:DWORD
	;; [unrolled: 1-line block ×25, first 2 shown]
	v_pk_fma_f16 v118, 0x2fb7, v75, v115 op_sel:[0,0,1] op_sel_hi:[0,1,0]
	v_add_f16_e32 v116, v116, v7
	v_fmamk_f16 v119, v35, 0x2fb7, v111
	v_mul_f16_sdwa v104, v76, v104 dst_sel:DWORD dst_unused:UNUSED_PAD src0_sel:WORD_1 src1_sel:DWORD
	v_mul_f16_sdwa v76, v76, v109 dst_sel:DWORD dst_unused:UNUSED_PAD src0_sel:WORD_1 src1_sel:DWORD
	v_fmamk_f16 v109, v37, 0xb5ac, v102
	v_pk_add_f16 v47, v118, v47
	v_add_f16_e32 v116, v119, v116
	v_add_f16_sdwa v50, v50, v7 dst_sel:DWORD dst_unused:UNUSED_PAD src0_sel:DWORD src1_sel:WORD_1
	v_fmamk_f16 v118, v36, 0x388b, v113
	v_add_f16_e32 v109, v109, v7
	v_fmamk_f16 v119, v35, 0xb9fd, v105
	v_add_f16_e32 v45, v83, v45
	v_add_f16_e32 v50, v51, v50
	;; [unrolled: 1-line block ×3, first 2 shown]
	v_fmamk_f16 v83, v28, 0xbbc4, v46
	v_add_f16_e32 v109, v119, v109
	v_add_f16_sdwa v54, v54, v7 dst_sel:DWORD dst_unused:UNUSED_PAD src0_sel:DWORD src1_sel:WORD_1
	v_fmamk_f16 v116, v36, 0x3b15, v117
	v_add_f16_e32 v50, v52, v50
	v_add_f16_e32 v51, v83, v51
	v_fmamk_f16 v52, v64, 0x3b15, v114
	v_add_f16_e32 v54, v55, v54
	v_add_f16_e32 v55, v116, v109
	;; [unrolled: 3-line block ×4, first 2 shown]
	v_fmamk_f16 v55, v64, 0xbbc4, v49
	v_fmamk_f16 v56, v35, 0xbbc4, v112
	v_add_f16_e32 v51, v52, v51
	v_fmamk_f16 v52, v37, 0x2fb7, v103
	v_add_f16_e32 v53, v63, v53
	v_add_f16_e32 v54, v55, v54
	v_fmamk_f16 v55, v75, 0x388b, v48
	v_fma_f16 v63, v35, 0x2fb7, -v111
	v_add_f16_e32 v52, v52, v7
	v_add_f16_sdwa v31, v31, v7 dst_sel:DWORD dst_unused:UNUSED_PAD src0_sel:DWORD src1_sel:WORD_1
	v_add_f16_e32 v50, v72, v50
	v_add_f16_e32 v54, v55, v54
	v_add_f16_sdwa v55, v57, v7 dst_sel:DWORD dst_unused:UNUSED_PAD src0_sel:DWORD src1_sel:WORD_1
	v_fmamk_f16 v57, v37, 0x388b, v41
	v_add_f16_e32 v52, v56, v52
	v_fmamk_f16 v56, v36, 0xb5ac, v79
	v_add_f16_e32 v53, v74, v53
	v_add_f16_e32 v55, v58, v55
	;; [unrolled: 1-line block ×3, first 2 shown]
	v_fmamk_f16 v58, v35, 0xb5ac, v97
	v_add_f16_e32 v52, v56, v52
	v_fmamk_f16 v56, v28, 0x3b15, v107
	v_add_f16_e32 v55, v59, v55
	v_add_f16_sdwa v59, v60, v7 dst_sel:DWORD dst_unused:UNUSED_PAD src0_sel:DWORD src1_sel:WORD_1
	v_add_f16_e32 v57, v58, v57
	v_fmamk_f16 v58, v36, 0xbbc4, v43
	v_add_f16_e32 v52, v56, v52
	v_fmamk_f16 v56, v64, 0x388b, v99
	;; [unrolled: 2-line block ×4, first 2 shown]
	v_add_f16_e32 v52, v56, v52
	v_add_f16_e32 v56, v62, v59
	v_fmamk_f16 v59, v37, 0x3b15, v95
	v_pk_fma_f16 v62, 0xbbc4, v37, v81 op_sel:[0,0,1] op_sel_hi:[0,1,0] neg_lo:[0,0,1] neg_hi:[0,0,1]
	v_add_f16_e32 v57, v58, v57
	v_fmamk_f16 v58, v64, 0x2fb7, v108
	v_add_f16_e32 v55, v66, v55
	v_add_f16_e32 v59, v59, v7
	v_pk_fma_f16 v66, 0x3b15, v35, v85 op_sel:[0,0,1] op_sel_hi:[0,1,0] neg_lo:[0,0,1] neg_hi:[0,0,1]
	v_pk_add_f16 v62, v62, v7
	v_add_f16_e32 v57, v58, v57
	v_fmamk_f16 v58, v75, 0x3b15, v104
	v_add_f16_e32 v59, v60, v59
	v_fmamk_f16 v60, v36, 0x2fb7, v98
	v_add_f16_e32 v55, v77, v55
	v_add_f16_e32 v56, v69, v56
	;; [unrolled: 1-line block ×3, first 2 shown]
	v_fma_f16 v69, v35, 0xb9fd, -v105
	v_add_f16_e32 v58, v60, v59
	v_fma_f16 v59, v37, 0xb9fd, -v100
	v_fma_f16 v72, v35, 0xbbc4, -v112
	;; [unrolled: 1-line block ×4, first 2 shown]
	v_pk_add_f16 v42, v66, v62
	v_add_f16_e32 v59, v59, v7
	v_fma_f16 v62, v36, 0x388b, -v113
	v_fmamk_f16 v77, v28, 0xb5ac, v44
	v_add_f16_e32 v29, v29, v31
	v_add_f16_e32 v56, v82, v56
	;; [unrolled: 1-line block ×3, first 2 shown]
	v_pk_fma_f16 v81, 0xb9fd, v36, v89 op_sel:[0,0,1] op_sel_hi:[0,1,0] neg_lo:[0,0,1] neg_hi:[0,0,1]
	v_add_f16_e32 v58, v77, v58
	v_fma_f16 v46, v28, 0xbbc4, -v46
	v_fmamk_f16 v83, v64, 0xb9fd, v65
	v_add_f16_e32 v25, v25, v29
	v_add_f16_e32 v29, v62, v31
	;; [unrolled: 1-line block ×3, first 2 shown]
	v_fma_f16 v60, v37, 0xb5ac, -v102
	v_pk_add_f16 v42, v81, v42
	v_fma_f16 v77, v28, 0x2fb7, -v106
	v_fma_f16 v81, v28, 0x3b15, -v107
	v_fma_f16 v82, v28, 0xb9fd, -v101
	v_pk_fma_f16 v84, 0x388b, v28, v92 op_sel:[0,0,1] op_sel_hi:[0,1,0] neg_lo:[0,0,1] neg_hi:[0,0,1]
	v_fma_f16 v28, v28, 0xb5ac, -v44
	v_add_f16_e32 v44, v83, v58
	v_fma_f16 v58, v64, 0x3b15, -v114
	v_add_f16_sdwa v31, v34, v7 dst_sel:DWORD dst_unused:UNUSED_PAD src0_sel:DWORD src1_sel:WORD_1
	v_add_f16_e32 v23, v23, v25
	v_add_f16_e32 v25, v46, v29
	v_pk_add_f16 v16, v16, v7
	v_add_f16_e32 v60, v60, v7
	v_add_f16_e32 v29, v32, v31
	v_fma_f16 v31, v75, 0xb5ac, -v110
	v_add_f16_e32 v25, v58, v25
	v_pk_add_f16 v15, v15, v16
	v_fma_f16 v66, v36, 0x3b15, -v117
	v_add_f16_e32 v26, v26, v29
	v_add_f16_e32 v29, v69, v60
	;; [unrolled: 1-line block ×3, first 2 shown]
	v_add_f16_sdwa v31, v33, v7 dst_sel:DWORD dst_unused:UNUSED_PAD src0_sel:DWORD src1_sel:WORD_1
	v_pk_add_f16 v14, v14, v15
	v_add_f16_e32 v17, v17, v26
	v_add_f16_e32 v26, v66, v29
	v_fmamk_f16 v61, v75, 0xb9fd, v96
	v_add_f16_e32 v20, v20, v31
	v_pk_add_f16 v13, v13, v14
	v_fma_f16 v41, v37, 0x388b, -v41
	v_fma_f16 v49, v64, 0xbbc4, -v49
	v_add_f16_e32 v16, v70, v17
	v_add_f16_e32 v17, v77, v26
	;; [unrolled: 1-line block ×3, first 2 shown]
	v_pk_add_f16 v12, v12, v13
	v_add_f16_e32 v52, v61, v52
	v_fma_f16 v61, v37, 0x2fb7, -v103
	v_fma_f16 v37, v37, 0x3b15, -v95
	v_add_f16_e32 v15, v67, v16
	v_add_f16_e32 v16, v49, v17
	;; [unrolled: 1-line block ×3, first 2 shown]
	v_add_f16_sdwa v13, v24, v7 dst_sel:DWORD dst_unused:UNUSED_PAD src0_sel:DWORD src1_sel:WORD_1
	v_add_f16_e32 v19, v41, v7
	v_pk_add_f16 v11, v11, v12
	v_add_f16_e32 v33, v61, v7
	v_fma_f16 v43, v36, 0xbbc4, -v43
	v_add_f16_e32 v12, v22, v13
	v_add_f16_e32 v13, v74, v19
	v_add_f16_sdwa v19, v30, v7 dst_sel:DWORD dst_unused:UNUSED_PAD src0_sel:DWORD src1_sel:WORD_1
	v_add_f16_e32 v7, v37, v7
	v_pk_add_f16 v10, v10, v11
	v_fma_f16 v79, v36, 0xb5ac, -v79
	v_add_f16_e32 v29, v72, v33
	v_fma_f16 v36, v36, 0x2fb7, -v98
	v_add_f16_e32 v11, v21, v12
	v_add_f16_e32 v12, v43, v13
	;; [unrolled: 1-line block ×4, first 2 shown]
	v_pk_add_f16 v9, v9, v10
	v_add_f16_e32 v20, v79, v29
	v_fma_f16 v63, v64, 0x2fb7, -v108
	v_add_f16_e32 v10, v39, v11
	v_add_f16_e32 v11, v82, v12
	v_add_f16_e32 v12, v38, v13
	v_add_f16_e32 v7, v36, v7
	v_pk_add_f16 v8, v8, v9
	v_pk_add_f16 v42, v84, v42
	v_fma_f16 v59, v64, 0x388b, -v99
	v_fma_f16 v65, v64, 0xb9fd, -v65
	v_fmamk_f16 v83, v75, 0xbbc4, v76
	v_pk_fma_f16 v64, 0xb5ac, v64, v88 op_sel:[0,0,1] op_sel_hi:[0,1,0] neg_lo:[0,0,1] neg_hi:[0,0,1]
	v_add_f16_e32 v18, v81, v20
	v_fma_f16 v46, v75, 0x3b15, -v104
	v_add_f16_e32 v9, v73, v10
	v_add_f16_e32 v10, v63, v11
	;; [unrolled: 1-line block ×4, first 2 shown]
	v_pk_add_f16 v6, v6, v8
	v_add_f16_e32 v55, v93, v55
	v_add_f16_e32 v34, v83, v44
	v_pk_add_f16 v42, v64, v42
	v_pk_fma_f16 v62, 0x2fb7, v75, v115 op_sel:[0,0,1] op_sel_hi:[0,1,0] neg_lo:[0,0,1] neg_hi:[0,0,1]
	v_add_f16_e32 v50, v86, v50
	v_add_f16_e32 v53, v90, v53
	v_fma_f16 v32, v75, 0x388b, -v48
	v_add_f16_e32 v23, v68, v23
	v_fma_f16 v44, v75, 0xb9fd, -v96
	v_add_f16_e32 v17, v71, v17
	v_add_f16_e32 v18, v59, v18
	v_fma_f16 v48, v75, 0xbbc4, -v76
	v_add_f16_e32 v8, v91, v9
	v_add_f16_e32 v9, v46, v10
	;; [unrolled: 1-line block ×4, first 2 shown]
	v_pk_add_f16 v5, v5, v6
	v_pk_add_f16 v42, v62, v42
	v_mad_u32_u24 v14, v4, 52, 0
	v_pack_b32_f16 v6, v57, v55
	v_pack_b32_f16 v11, v34, v56
	v_add_f16_e32 v23, v80, v23
	v_add_f16_e32 v16, v32, v16
	v_pack_b32_f16 v12, v54, v50
	v_pack_b32_f16 v13, v52, v53
	v_add_f16_e32 v17, v87, v17
	v_add_f16_e32 v18, v44, v18
	;; [unrolled: 1-line block ×4, first 2 shown]
	v_pk_add_f16 v0, v0, v5
	v_pack_b32_f16 v5, v51, v45
	ds_write2_b32 v14, v11, v6 offset0:1 offset1:2
	ds_write2_b32 v14, v13, v12 offset0:3 offset1:4
	v_bfi_b32 v6, 0xffff, v42, v47
	v_bfi_b32 v11, 0xffff, v47, v42
	v_pack_b32_f16 v12, v16, v15
	v_pack_b32_f16 v13, v25, v23
	v_pack_b32_f16 v8, v9, v8
	v_pack_b32_f16 v9, v18, v17
	v_pack_b32_f16 v7, v7, v10
	ds_write2_b32 v14, v0, v5 offset1:5
	ds_write2_b32 v14, v11, v6 offset0:6 offset1:7
	ds_write2_b32 v14, v13, v12 offset0:8 offset1:9
	;; [unrolled: 1-line block ×3, first 2 shown]
	ds_write_b32 v14, v7 offset:48
.LBB0_15:
	s_or_b32 exec_lo, exec_lo, s1
	s_waitcnt vmcnt(0)
	v_and_b32_e32 v0, 0xff, v4
	v_mov_b32_e32 v5, 10
	s_waitcnt lgkmcnt(0)
	s_barrier
	buffer_gl0_inv
	v_mul_lo_u16 v0, 0x4f, v0
	v_lshl_add_u32 v8, v4, 2, 0
	v_mov_b32_e32 v32, 0x23c
	v_mov_b32_e32 v33, 2
	v_lshrrev_b16 v29, 10, v0
	v_add_nc_u32_e32 v9, 0x1100, v8
	v_add_nc_u32_e32 v10, 0x400, v8
	;; [unrolled: 1-line block ×3, first 2 shown]
	v_mul_lo_u16 v0, v29, 13
	v_mul_u32_u24_sdwa v29, v29, v32 dst_sel:DWORD dst_unused:UNUSED_PAD src0_sel:WORD_0 src1_sel:DWORD
	v_sub_nc_u16 v30, v4, v0
	v_mul_u32_u24_sdwa v0, v30, v5 dst_sel:DWORD dst_unused:UNUSED_PAD src0_sel:BYTE_0 src1_sel:DWORD
	v_lshlrev_b32_sdwa v30, v33, v30 dst_sel:DWORD dst_unused:UNUSED_PAD src0_sel:DWORD src1_sel:BYTE_0
	v_lshlrev_b32_e32 v0, 2, v0
	v_add3_u32 v29, 0, v29, v30
	s_clause 0x2
	global_load_dwordx4 v[11:14], v0, s[8:9]
	global_load_dwordx4 v[15:18], v0, s[8:9] offset:16
	global_load_dwordx2 v[19:20], v0, s[8:9] offset:32
	v_add_nc_u32_e32 v0, 0xc00, v8
	ds_read_b32 v31, v8 offset:5720
	ds_read2_b32 v[5:6], v8 offset1:143
	ds_read2_b32 v[21:22], v0 offset0:90 offset1:233
	ds_read2_b32 v[23:24], v9 offset0:56 offset1:199
	;; [unrolled: 1-line block ×4, first 2 shown]
	s_waitcnt vmcnt(0) lgkmcnt(0)
	s_barrier
	buffer_gl0_inv
	v_lshrrev_b32_e32 v32, 16, v31
	v_lshrrev_b32_e32 v34, 16, v6
	;; [unrolled: 1-line block ×10, first 2 shown]
	v_mul_f16_sdwa v30, v11, v34 dst_sel:DWORD dst_unused:UNUSED_PAD src0_sel:WORD_1 src1_sel:DWORD
	v_mul_f16_sdwa v42, v11, v6 dst_sel:DWORD dst_unused:UNUSED_PAD src0_sel:WORD_1 src1_sel:DWORD
	;; [unrolled: 1-line block ×10, first 2 shown]
	v_mul_f16_sdwa v51, v33, v16 dst_sel:DWORD dst_unused:UNUSED_PAD src0_sel:DWORD src1_sel:WORD_1
	v_mul_f16_sdwa v52, v21, v16 dst_sel:DWORD dst_unused:UNUSED_PAD src0_sel:DWORD src1_sel:WORD_1
	;; [unrolled: 1-line block ×10, first 2 shown]
	v_fmac_f16_e32 v30, v11, v6
	v_fma_f16 v6, v11, v34, -v42
	v_fmac_f16_e32 v43, v12, v25
	v_fma_f16 v11, v12, v38, -v44
	;; [unrolled: 2-line block ×8, first 2 shown]
	v_fmac_f16_e32 v57, v24, v19
	v_fmac_f16_e32 v59, v31, v20
	v_fma_f16 v18, v32, v20, -v60
	v_fma_f16 v19, v37, v19, -v58
	v_add_f16_e32 v20, v30, v5
	v_add_f16_sdwa v21, v6, v5 dst_sel:DWORD dst_unused:UNUSED_PAD src0_sel:DWORD src1_sel:WORD_1
	v_add_f16_e32 v22, v30, v59
	v_add_f16_e32 v23, v6, v18
	v_add_f16_e32 v26, v11, v19
	v_sub_f16_e32 v28, v11, v19
	v_add_f16_e32 v20, v20, v43
	v_add_f16_e32 v11, v21, v11
	v_sub_f16_e32 v6, v6, v18
	v_sub_f16_e32 v24, v30, v59
	v_add_f16_e32 v25, v43, v57
	v_add_f16_e32 v20, v20, v45
	;; [unrolled: 1-line block ×3, first 2 shown]
	v_sub_f16_e32 v27, v43, v57
	v_add_f16_e32 v31, v12, v17
	v_sub_f16_e32 v33, v12, v17
	v_add_f16_e32 v35, v13, v16
	;; [unrolled: 2-line block ×3, first 2 shown]
	v_sub_f16_e32 v41, v14, v15
	v_mul_f16_e32 v21, 0xb853, v6
	v_mul_f16_e32 v42, 0x3abb, v23
	;; [unrolled: 1-line block ×10, first 2 shown]
	v_add_f16_e32 v20, v20, v47
	v_add_f16_e32 v11, v11, v13
	;; [unrolled: 1-line block ×3, first 2 shown]
	v_sub_f16_e32 v32, v45, v55
	v_add_f16_e32 v34, v47, v53
	v_sub_f16_e32 v36, v47, v53
	v_add_f16_e32 v38, v49, v51
	v_sub_f16_e32 v40, v49, v51
	v_mul_f16_e32 v54, 0xbb47, v28
	v_mul_f16_e32 v56, 0x36a6, v26
	v_mul_f16_e32 v58, 0xba0c, v28
	v_mul_f16_e32 v60, 0xb93d, v26
	v_mul_f16_e32 v61, 0x3482, v28
	v_mul_f16_e32 v62, 0xbbad, v26
	v_mul_f16_e32 v63, 0x3beb, v28
	v_mul_f16_e32 v64, 0xb08e, v26
	v_mul_f16_e32 v28, 0x3853, v28
	v_mul_f16_e32 v26, 0x3abb, v26
	v_mul_f16_e32 v65, 0xbbeb, v33
	v_mul_f16_e32 v66, 0xb08e, v31
	v_mul_f16_e32 v67, 0x3482, v33
	v_mul_f16_e32 v68, 0xbbad, v31
	v_mul_f16_e32 v69, 0x3b47, v33
	v_mul_f16_e32 v70, 0x36a6, v31
	v_mul_f16_e32 v71, 0xb853, v33
	v_mul_f16_e32 v72, 0x3abb, v31
	v_mul_f16_e32 v33, 0xba0c, v33
	v_mul_f16_e32 v31, 0xb93d, v31
	v_mul_f16_e32 v73, 0xba0c, v37
	v_mul_f16_e32 v74, 0xb93d, v35
	v_mul_f16_e32 v75, 0x3beb, v37
	v_mul_f16_e32 v76, 0xb08e, v35
	v_mul_f16_e32 v77, 0xb853, v37
	v_mul_f16_e32 v78, 0x3abb, v35
	v_mul_f16_e32 v79, 0xb482, v37
	v_mul_f16_e32 v80, 0xbbad, v35
	v_mul_f16_e32 v37, 0x3b47, v37
	v_mul_f16_e32 v35, 0x36a6, v35
	v_mul_f16_e32 v81, 0xb482, v41
	v_mul_f16_e32 v82, 0xbbad, v39
	v_mul_f16_e32 v83, 0x3853, v41
	v_mul_f16_e32 v84, 0x3abb, v39
	v_mul_f16_e32 v85, 0xba0c, v41
	v_mul_f16_e32 v86, 0xb93d, v39
	v_mul_f16_e32 v87, 0x3b47, v41
	v_mul_f16_e32 v88, 0x36a6, v39
	v_mul_f16_e32 v41, 0xbbeb, v41
	v_mul_f16_e32 v39, 0xb08e, v39
	v_fmamk_f16 v12, v22, 0x3abb, v21
	v_fmamk_f16 v45, v24, 0x3853, v42
	v_fma_f16 v21, v22, 0x3abb, -v21
	v_fmac_f16_e32 v42, 0xb853, v24
	v_fmamk_f16 v89, v22, 0x36a6, v43
	v_fmamk_f16 v90, v24, 0x3b47, v44
	v_fma_f16 v43, v22, 0x36a6, -v43
	v_fmac_f16_e32 v44, 0xbb47, v24
	;; [unrolled: 4-line block ×5, first 2 shown]
	v_add_f16_e32 v20, v20, v49
	v_add_f16_e32 v11, v11, v14
	v_fmamk_f16 v22, v25, 0x36a6, v54
	v_fmamk_f16 v24, v27, 0x3b47, v56
	v_fma_f16 v54, v25, 0x36a6, -v54
	v_fmac_f16_e32 v56, 0xbb47, v27
	v_fmamk_f16 v97, v25, 0xb93d, v58
	v_fmamk_f16 v98, v27, 0x3a0c, v60
	v_fma_f16 v58, v25, 0xb93d, -v58
	v_fmac_f16_e32 v60, 0xba0c, v27
	;; [unrolled: 4-line block ×16, first 2 shown]
	v_fmamk_f16 v121, v38, 0x3abb, v83
	v_fma_f16 v83, v38, 0x3abb, -v83
	v_fmamk_f16 v122, v38, 0xb93d, v85
	v_fma_f16 v85, v38, 0xb93d, -v85
	;; [unrolled: 2-line block ×4, first 2 shown]
	v_fmamk_f16 v41, v40, 0xb853, v84
	v_fmac_f16_e32 v84, 0x3853, v40
	v_fmamk_f16 v125, v40, 0x3a0c, v86
	v_fmac_f16_e32 v86, 0xba0c, v40
	v_fmamk_f16 v126, v40, 0xbb47, v88
	v_fmac_f16_e32 v88, 0x3b47, v40
	v_fmamk_f16 v127, v40, 0x3beb, v39
	v_fmac_f16_e32 v39, 0xbbeb, v40
	v_add_f16_e32 v12, v12, v5
	v_add_f16_sdwa v13, v45, v5 dst_sel:DWORD dst_unused:UNUSED_PAD src0_sel:DWORD src1_sel:WORD_1
	v_add_f16_e32 v21, v21, v5
	v_add_f16_sdwa v40, v42, v5 dst_sel:DWORD dst_unused:UNUSED_PAD src0_sel:DWORD src1_sel:WORD_1
	;; [unrolled: 2-line block ×10, first 2 shown]
	v_add_f16_e32 v20, v20, v51
	v_add_f16_e32 v11, v11, v15
	;; [unrolled: 1-line block ×89, first 2 shown]
	v_add_f16_sdwa v11, v11, v18 dst_sel:WORD_1 dst_unused:UNUSED_PAD src0_sel:DWORD src1_sel:DWORD
	v_pack_b32_f16 v12, v12, v13
	v_pack_b32_f16 v13, v16, v17
	;; [unrolled: 1-line block ×10, first 2 shown]
	v_or_b32_sdwa v11, v11, v20 dst_sel:DWORD dst_unused:UNUSED_PAD src0_sel:DWORD src1_sel:WORD_0
	ds_write2_b32 v29, v13, v16 offset0:26 offset1:39
	ds_write2_b32 v29, v17, v19 offset0:52 offset1:65
	;; [unrolled: 1-line block ×4, first 2 shown]
	ds_write_b32 v29, v14 offset:520
	ds_write2_b32 v29, v11, v12 offset1:13
	s_waitcnt lgkmcnt(0)
	s_barrier
	buffer_gl0_inv
	s_and_saveexec_b32 s0, vcc_lo
	s_cbranch_execz .LBB0_17
; %bb.16:
	v_mul_u32_u24_e32 v4, 10, v4
	v_lshlrev_b64 v[1:2], 2, v[1:2]
	v_lshlrev_b32_e32 v4, 2, v4
	s_clause 0x2
	global_load_dwordx4 v[11:14], v4, s[8:9] offset:520
	global_load_dwordx2 v[19:20], v4, s[8:9] offset:552
	global_load_dwordx4 v[15:18], v4, s[8:9] offset:536
	ds_read2_b32 v[5:6], v8 offset1:143
	ds_read_b32 v27, v8 offset:5720
	ds_read2_b32 v[21:22], v10 offset0:30 offset1:173
	ds_read2_b32 v[8:9], v9 offset0:56 offset1:199
	;; [unrolled: 1-line block ×4, first 2 shown]
	v_mov_b32_e32 v4, 0
	v_add_co_u32 v0, vcc_lo, s2, v1
	v_add_co_ci_u32_e32 v1, vcc_lo, s3, v2, vcc_lo
	v_lshlrev_b64 v[3:4], 2, v[3:4]
	v_add_co_u32 v0, vcc_lo, v0, v3
	v_add_co_ci_u32_e32 v1, vcc_lo, v1, v4, vcc_lo
	s_waitcnt lgkmcnt(5)
	v_lshrrev_b32_e32 v2, 16, v6
	s_waitcnt lgkmcnt(4)
	v_lshrrev_b32_e32 v3, 16, v27
	;; [unrolled: 2-line block ×4, first 2 shown]
	v_lshrrev_b32_e32 v10, 16, v22
	v_lshrrev_b32_e32 v28, 16, v8
	s_waitcnt lgkmcnt(1)
	v_lshrrev_b32_e32 v29, 16, v23
	s_waitcnt lgkmcnt(0)
	v_lshrrev_b32_e32 v30, 16, v26
	v_lshrrev_b32_e32 v31, 16, v24
	;; [unrolled: 1-line block ×3, first 2 shown]
	s_waitcnt vmcnt(2)
	v_mul_f16_sdwa v33, v11, v2 dst_sel:DWORD dst_unused:UNUSED_PAD src0_sel:WORD_1 src1_sel:DWORD
	s_waitcnt vmcnt(1)
	v_mul_f16_sdwa v34, v20, v3 dst_sel:DWORD dst_unused:UNUSED_PAD src0_sel:WORD_1 src1_sel:DWORD
	v_mul_f16_sdwa v35, v27, v20 dst_sel:DWORD dst_unused:UNUSED_PAD src0_sel:DWORD src1_sel:WORD_1
	v_mul_f16_sdwa v36, v11, v6 dst_sel:DWORD dst_unused:UNUSED_PAD src0_sel:WORD_1 src1_sel:DWORD
	v_mul_f16_sdwa v37, v12, v4 dst_sel:DWORD dst_unused:UNUSED_PAD src0_sel:WORD_1 src1_sel:DWORD
	;; [unrolled: 1-line block ×3, first 2 shown]
	v_mul_f16_sdwa v39, v9, v19 dst_sel:DWORD dst_unused:UNUSED_PAD src0_sel:DWORD src1_sel:WORD_1
	v_mul_f16_sdwa v40, v12, v21 dst_sel:DWORD dst_unused:UNUSED_PAD src0_sel:WORD_1 src1_sel:DWORD
	v_mul_f16_sdwa v41, v13, v10 dst_sel:DWORD dst_unused:UNUSED_PAD src0_sel:WORD_1 src1_sel:DWORD
	s_waitcnt vmcnt(0)
	v_mul_f16_sdwa v42, v18, v28 dst_sel:DWORD dst_unused:UNUSED_PAD src0_sel:WORD_1 src1_sel:DWORD
	v_mul_f16_sdwa v43, v8, v18 dst_sel:DWORD dst_unused:UNUSED_PAD src0_sel:DWORD src1_sel:WORD_1
	v_mul_f16_sdwa v44, v13, v22 dst_sel:DWORD dst_unused:UNUSED_PAD src0_sel:WORD_1 src1_sel:DWORD
	v_mul_f16_sdwa v45, v14, v29 dst_sel:DWORD dst_unused:UNUSED_PAD src0_sel:WORD_1 src1_sel:DWORD
	;; [unrolled: 1-line block ×3, first 2 shown]
	v_mul_f16_sdwa v47, v26, v17 dst_sel:DWORD dst_unused:UNUSED_PAD src0_sel:DWORD src1_sel:WORD_1
	v_mul_f16_sdwa v48, v14, v23 dst_sel:DWORD dst_unused:UNUSED_PAD src0_sel:WORD_1 src1_sel:DWORD
	v_mul_f16_sdwa v49, v15, v31 dst_sel:DWORD dst_unused:UNUSED_PAD src0_sel:WORD_1 src1_sel:DWORD
	;; [unrolled: 1-line block ×3, first 2 shown]
	v_mul_f16_sdwa v51, v25, v16 dst_sel:DWORD dst_unused:UNUSED_PAD src0_sel:DWORD src1_sel:WORD_1
	v_mul_f16_sdwa v52, v15, v24 dst_sel:DWORD dst_unused:UNUSED_PAD src0_sel:WORD_1 src1_sel:DWORD
	v_fmac_f16_e32 v33, v11, v6
	v_fmac_f16_e32 v34, v20, v27
	v_fma_f16 v20, v20, v3, -v35
	v_fma_f16 v2, v11, v2, -v36
	v_fmac_f16_e32 v37, v12, v21
	v_fmac_f16_e32 v38, v19, v9
	v_fma_f16 v9, v19, v7, -v39
	v_fma_f16 v3, v12, v4, -v40
	;; [unrolled: 4-line block ×5, first 2 shown]
	v_sub_f16_e32 v7, v33, v34
	v_add_f16_e32 v13, v2, v20
	v_sub_f16_e32 v14, v37, v38
	v_add_f16_e32 v15, v3, v9
	;; [unrolled: 2-line block ×5, first 2 shown]
	v_add_f16_e32 v23, v33, v34
	v_sub_f16_e32 v24, v2, v20
	v_sub_f16_e32 v26, v3, v9
	;; [unrolled: 1-line block ×5, first 2 shown]
	v_add_f16_sdwa v2, v2, v5 dst_sel:DWORD dst_unused:UNUSED_PAD src0_sel:DWORD src1_sel:WORD_1
	v_add_f16_e32 v33, v33, v5
	v_add_f16_e32 v25, v37, v38
	;; [unrolled: 1-line block ×5, first 2 shown]
	v_mul_f16_e32 v35, 0xb482, v7
	v_mul_f16_e32 v36, 0x3853, v14
	;; [unrolled: 1-line block ×50, first 2 shown]
	v_add_f16_e32 v88, v2, v3
	v_add_f16_e32 v33, v33, v37
	v_fmamk_f16 v37, v13, 0xbbad, v35
	v_fmamk_f16 v89, v15, 0x3abb, v36
	;; [unrolled: 1-line block ×5, first 2 shown]
	v_fma_f16 v93, v23, 0xbbad, -v44
	v_fma_f16 v94, v25, 0x3abb, -v47
	;; [unrolled: 1-line block ×10, first 2 shown]
	v_fmac_f16_e32 v44, 0xbbad, v23
	v_fmac_f16_e32 v47, 0x3abb, v25
	;; [unrolled: 1-line block ×5, first 2 shown]
	v_fmamk_f16 v35, v7, 0x3a0c, v53
	v_fmamk_f16 v36, v14, 0xbbeb, v54
	;; [unrolled: 1-line block ×32, first 2 shown]
	v_fmac_f16_e32 v53, 0xba0c, v7
	v_fmac_f16_e32 v63, 0xbbeb, v7
	v_fmac_f16_e32 v73, 0xbb47, v7
	v_fmac_f16_e32 v83, 0xb853, v7
	v_fmamk_f16 v125, v16, 0x3beb, v85
	v_fmac_f16_e32 v54, 0x3beb, v14
	v_fmac_f16_e32 v64, 0x3482, v14
	v_fmac_f16_e32 v74, 0xba0c, v14
	v_fmac_f16_e32 v84, 0xbb47, v14
	v_fmamk_f16 v14, v18, 0x3a0c, v86
	;; [unrolled: 5-line block ×5, first 2 shown]
	v_fma_f16 v58, v23, 0xb93d, -v58
	v_fma_f16 v68, v23, 0xb08e, -v68
	v_fma_f16 v78, v23, 0x36a6, -v78
	v_fma_f16 v23, v23, 0x3abb, -v24
	v_fmamk_f16 v24, v27, 0xb08e, v28
	v_fma_f16 v59, v25, 0xb08e, -v59
	v_fma_f16 v69, v25, 0xbbad, -v69
	v_fma_f16 v79, v25, 0xb93d, -v79
	v_fma_f16 v25, v25, 0x36a6, -v26
	v_fmamk_f16 v26, v29, 0xb93d, v30
	;; [unrolled: 5-line block ×3, first 2 shown]
	v_fma_f16 v61, v29, 0xbbad, -v61
	v_fma_f16 v62, v31, 0x36a6, -v62
	;; [unrolled: 1-line block ×8, first 2 shown]
	v_add_f16_e32 v31, v88, v6
	v_add_f16_e32 v32, v33, v41
	v_add_f16_sdwa v33, v37, v5 dst_sel:DWORD dst_unused:UNUSED_PAD src0_sel:DWORD src1_sel:WORD_1
	v_add_f16_e32 v37, v93, v5
	v_add_f16_sdwa v13, v13, v5 dst_sel:DWORD dst_unused:UNUSED_PAD src0_sel:DWORD src1_sel:WORD_1
	;; [unrolled: 2-line block ×10, first 2 shown]
	v_add_f16_e32 v5, v23, v5
	v_add_f16_e32 v10, v31, v10
	;; [unrolled: 1-line block ×84, first 2 shown]
	v_add_co_u32 v2, vcc_lo, 0x800, v0
	v_add_f16_e32 v15, v15, v52
	v_add_f16_e32 v24, v26, v67
	;; [unrolled: 1-line block ×7, first 2 shown]
	v_add_co_ci_u32_e32 v3, vcc_lo, 0, v1, vcc_lo
	v_add_f16_sdwa v4, v20, v4 dst_sel:WORD_1 dst_unused:UNUSED_PAD src0_sel:DWORD src1_sel:DWORD
	v_add_f16_e32 v8, v34, v8
	v_add_co_u32 v6, vcc_lo, 0x1000, v0
	v_add_f16_e32 v29, v37, v87
	v_add_f16_e32 v5, v5, v30
	v_pack_b32_f16 v9, v16, v14
	v_pack_b32_f16 v11, v12, v11
	;; [unrolled: 1-line block ×4, first 2 shown]
	v_add_co_ci_u32_e32 v7, vcc_lo, 0, v1, vcc_lo
	v_pack_b32_f16 v16, v23, v22
	v_pack_b32_f16 v13, v15, v13
	;; [unrolled: 1-line block ×5, first 2 shown]
	v_or_b32_sdwa v4, v4, v8 dst_sel:DWORD dst_unused:UNUSED_PAD src0_sel:DWORD src1_sel:WORD_0
	v_pack_b32_f16 v5, v5, v29
	global_store_dword v[0:1], v9, off offset:572
	global_store_dword v[0:1], v14, off offset:1144
	global_store_dword v[0:1], v16, off offset:1716
	global_store_dword v[2:3], v17, off offset:240
	global_store_dword v[2:3], v13, off offset:812
	global_store_dword v[2:3], v11, off offset:1384
	global_store_dword v[2:3], v12, off offset:1956
	global_store_dword v[6:7], v15, off offset:480
	global_store_dword v[6:7], v10, off offset:1052
	global_store_dword v[0:1], v4, off
	global_store_dword v[6:7], v5, off offset:1624
.LBB0_17:
	s_endpgm
	.section	.rodata,"a",@progbits
	.p2align	6, 0x0
	.amdhsa_kernel fft_rtc_back_len1573_factors_13_11_11_wgs_143_tpt_143_half_ip_CI_unitstride_sbrr_dirReg
		.amdhsa_group_segment_fixed_size 0
		.amdhsa_private_segment_fixed_size 0
		.amdhsa_kernarg_size 88
		.amdhsa_user_sgpr_count 6
		.amdhsa_user_sgpr_private_segment_buffer 1
		.amdhsa_user_sgpr_dispatch_ptr 0
		.amdhsa_user_sgpr_queue_ptr 0
		.amdhsa_user_sgpr_kernarg_segment_ptr 1
		.amdhsa_user_sgpr_dispatch_id 0
		.amdhsa_user_sgpr_flat_scratch_init 0
		.amdhsa_user_sgpr_private_segment_size 0
		.amdhsa_wavefront_size32 1
		.amdhsa_uses_dynamic_stack 0
		.amdhsa_system_sgpr_private_segment_wavefront_offset 0
		.amdhsa_system_sgpr_workgroup_id_x 1
		.amdhsa_system_sgpr_workgroup_id_y 0
		.amdhsa_system_sgpr_workgroup_id_z 0
		.amdhsa_system_sgpr_workgroup_info 0
		.amdhsa_system_vgpr_workitem_id 0
		.amdhsa_next_free_vgpr 128
		.amdhsa_next_free_sgpr 21
		.amdhsa_reserve_vcc 1
		.amdhsa_reserve_flat_scratch 0
		.amdhsa_float_round_mode_32 0
		.amdhsa_float_round_mode_16_64 0
		.amdhsa_float_denorm_mode_32 3
		.amdhsa_float_denorm_mode_16_64 3
		.amdhsa_dx10_clamp 1
		.amdhsa_ieee_mode 1
		.amdhsa_fp16_overflow 0
		.amdhsa_workgroup_processor_mode 1
		.amdhsa_memory_ordered 1
		.amdhsa_forward_progress 0
		.amdhsa_shared_vgpr_count 0
		.amdhsa_exception_fp_ieee_invalid_op 0
		.amdhsa_exception_fp_denorm_src 0
		.amdhsa_exception_fp_ieee_div_zero 0
		.amdhsa_exception_fp_ieee_overflow 0
		.amdhsa_exception_fp_ieee_underflow 0
		.amdhsa_exception_fp_ieee_inexact 0
		.amdhsa_exception_int_div_zero 0
	.end_amdhsa_kernel
	.text
.Lfunc_end0:
	.size	fft_rtc_back_len1573_factors_13_11_11_wgs_143_tpt_143_half_ip_CI_unitstride_sbrr_dirReg, .Lfunc_end0-fft_rtc_back_len1573_factors_13_11_11_wgs_143_tpt_143_half_ip_CI_unitstride_sbrr_dirReg
                                        ; -- End function
	.section	.AMDGPU.csdata,"",@progbits
; Kernel info:
; codeLenInByte = 9648
; NumSgprs: 23
; NumVgprs: 128
; ScratchSize: 0
; MemoryBound: 0
; FloatMode: 240
; IeeeMode: 1
; LDSByteSize: 0 bytes/workgroup (compile time only)
; SGPRBlocks: 2
; VGPRBlocks: 15
; NumSGPRsForWavesPerEU: 23
; NumVGPRsForWavesPerEU: 128
; Occupancy: 8
; WaveLimiterHint : 1
; COMPUTE_PGM_RSRC2:SCRATCH_EN: 0
; COMPUTE_PGM_RSRC2:USER_SGPR: 6
; COMPUTE_PGM_RSRC2:TRAP_HANDLER: 0
; COMPUTE_PGM_RSRC2:TGID_X_EN: 1
; COMPUTE_PGM_RSRC2:TGID_Y_EN: 0
; COMPUTE_PGM_RSRC2:TGID_Z_EN: 0
; COMPUTE_PGM_RSRC2:TIDIG_COMP_CNT: 0
	.text
	.p2alignl 6, 3214868480
	.fill 48, 4, 3214868480
	.type	__hip_cuid_13d6f24ec9820266,@object ; @__hip_cuid_13d6f24ec9820266
	.section	.bss,"aw",@nobits
	.globl	__hip_cuid_13d6f24ec9820266
__hip_cuid_13d6f24ec9820266:
	.byte	0                               ; 0x0
	.size	__hip_cuid_13d6f24ec9820266, 1

	.ident	"AMD clang version 19.0.0git (https://github.com/RadeonOpenCompute/llvm-project roc-6.4.0 25133 c7fe45cf4b819c5991fe208aaa96edf142730f1d)"
	.section	".note.GNU-stack","",@progbits
	.addrsig
	.addrsig_sym __hip_cuid_13d6f24ec9820266
	.amdgpu_metadata
---
amdhsa.kernels:
  - .args:
      - .actual_access:  read_only
        .address_space:  global
        .offset:         0
        .size:           8
        .value_kind:     global_buffer
      - .offset:         8
        .size:           8
        .value_kind:     by_value
      - .actual_access:  read_only
        .address_space:  global
        .offset:         16
        .size:           8
        .value_kind:     global_buffer
      - .actual_access:  read_only
        .address_space:  global
        .offset:         24
        .size:           8
        .value_kind:     global_buffer
      - .offset:         32
        .size:           8
        .value_kind:     by_value
      - .actual_access:  read_only
        .address_space:  global
        .offset:         40
        .size:           8
        .value_kind:     global_buffer
      - .actual_access:  read_only
        .address_space:  global
        .offset:         48
        .size:           8
        .value_kind:     global_buffer
      - .offset:         56
        .size:           4
        .value_kind:     by_value
      - .actual_access:  read_only
        .address_space:  global
        .offset:         64
        .size:           8
        .value_kind:     global_buffer
      - .actual_access:  read_only
        .address_space:  global
        .offset:         72
        .size:           8
        .value_kind:     global_buffer
      - .address_space:  global
        .offset:         80
        .size:           8
        .value_kind:     global_buffer
    .group_segment_fixed_size: 0
    .kernarg_segment_align: 8
    .kernarg_segment_size: 88
    .language:       OpenCL C
    .language_version:
      - 2
      - 0
    .max_flat_workgroup_size: 143
    .name:           fft_rtc_back_len1573_factors_13_11_11_wgs_143_tpt_143_half_ip_CI_unitstride_sbrr_dirReg
    .private_segment_fixed_size: 0
    .sgpr_count:     23
    .sgpr_spill_count: 0
    .symbol:         fft_rtc_back_len1573_factors_13_11_11_wgs_143_tpt_143_half_ip_CI_unitstride_sbrr_dirReg.kd
    .uniform_work_group_size: 1
    .uses_dynamic_stack: false
    .vgpr_count:     128
    .vgpr_spill_count: 0
    .wavefront_size: 32
    .workgroup_processor_mode: 1
amdhsa.target:   amdgcn-amd-amdhsa--gfx1030
amdhsa.version:
  - 1
  - 2
...

	.end_amdgpu_metadata
